;; amdgpu-corpus repo=zjin-lcf/HeCBench kind=compiled arch=gfx1250 opt=O3
	.amdgcn_target "amdgcn-amd-amdhsa--gfx1250"
	.amdhsa_code_object_version 6
	.section	.text._Z19moe_sum_kernel_vec4ILi2EEvPfPKfi,"axG",@progbits,_Z19moe_sum_kernel_vec4ILi2EEvPfPKfi,comdat
	.protected	_Z19moe_sum_kernel_vec4ILi2EEvPfPKfi ; -- Begin function _Z19moe_sum_kernel_vec4ILi2EEvPfPKfi
	.globl	_Z19moe_sum_kernel_vec4ILi2EEvPfPKfi
	.p2align	8
	.type	_Z19moe_sum_kernel_vec4ILi2EEvPfPKfi,@function
_Z19moe_sum_kernel_vec4ILi2EEvPfPKfi:   ; @_Z19moe_sum_kernel_vec4ILi2EEvPfPKfi
; %bb.0:
	s_load_b32 s2, s[0:1], 0x10
	s_mov_b32 s3, exec_lo
	s_wait_kmcnt 0x0
	s_ashr_i32 s10, s2, 2
	s_delay_alu instid0(SALU_CYCLE_1)
	v_cmpx_gt_i32_e64 s10, v0
	s_cbranch_execz .LBB0_10
; %bb.1:
	s_clause 0x1
	s_load_b32 s11, s[0:1], 0x24
	s_load_b128 s[4:7], s[0:1], 0x0
	s_wait_xcnt 0x0
	s_bfe_u32 s0, ttmp6, 0x4000c
	v_add_max_i32_e64 v1, v0, 1, s10
	s_add_co_i32 s0, s0, 1
	s_and_b32 s3, ttmp6, 15
	s_mul_i32 s0, ttmp9, s0
	s_getreg_b32 s8, hwreg(HW_REG_IB_STS2, 6, 4)
	s_add_co_i32 s3, s3, s0
	v_sub_nc_u32_e32 v4, v1, v0
	s_cmp_eq_u32 s8, 0
	s_mov_b32 s1, 0
	s_cselect_b32 s0, ttmp9, s3
	s_ashr_i32 s3, s2, 31
	s_delay_alu instid0(SALU_CYCLE_1)
	s_mul_u64 s[2:3], s[2:3], s[0:1]
	v_cmp_gt_u32_e64 s1, 6, v4
	s_lshr_b64 s[8:9], s[2:3], 2
	s_lshr_b64 s[2:3], s[2:3], 1
	s_mov_b32 s9, exec_lo
	s_wait_kmcnt 0x0
	s_and_b32 s3, s11, 0xffff
	v_cmpx_lt_u32_e32 5, v4
	s_cbranch_execz .LBB0_7
; %bb.2:
	s_cvt_f32_u32 s0, s3
	v_add_nc_u32_e32 v2, s3, v0
	s_cmp_eq_u32 s3, 1
	s_cselect_b32 s11, -1, 0
	v_rcp_iflag_f32_e32 v1, s0
	s_delay_alu instid0(VALU_DEP_1) | instskip(SKIP_1) | instid1(TRANS32_DEP_1)
	v_cmp_gt_i32_e32 vcc_lo, s10, v2
	s_sub_co_i32 s12, 0, s3
	v_readfirstlane_b32 s0, v1
	v_max_i32_e32 v1, s10, v2
	v_add_co_ci_u32_e64 v2, null, s3, v0, vcc_lo
	s_mul_f32 s0, s0, 0x4f7ffffe
	v_sub_nc_u32_e32 v1, v1, v2
	s_delay_alu instid0(SALU_CYCLE_2) | instskip(NEXT) | instid1(SALU_CYCLE_3)
	s_cvt_u32_f32 s0, s0
	s_mul_i32 s12, s12, s0
	s_delay_alu instid0(SALU_CYCLE_1) | instskip(NEXT) | instid1(SALU_CYCLE_1)
	s_mul_hi_u32 s12, s0, s12
	s_add_co_i32 s0, s0, s12
	s_delay_alu instid0(SALU_CYCLE_1) | instskip(NEXT) | instid1(VALU_DEP_1)
	v_mul_hi_u32 v2, v1, s0
	v_mul_lo_u32 v3, v2, s3
	s_delay_alu instid0(VALU_DEP_1) | instskip(NEXT) | instid1(VALU_DEP_1)
	v_dual_sub_nc_u32 v1, v1, v3 :: v_dual_add_nc_u32 v3, 1, v2
	v_subrev_nc_u32_e32 v5, s3, v1
	v_cmp_le_u32_e64 s0, s3, v1
	s_delay_alu instid0(VALU_DEP_1) | instskip(NEXT) | instid1(VALU_DEP_1)
	v_dual_cndmask_b32 v2, v2, v3, s0 :: v_dual_cndmask_b32 v1, v1, v5, s0
	v_add_nc_u32_e32 v3, 1, v2
	s_delay_alu instid0(VALU_DEP_2) | instskip(NEXT) | instid1(VALU_DEP_1)
	v_cmp_le_u32_e64 s0, s3, v1
	v_dual_add_nc_u32 v5, s2, v0 :: v_dual_cndmask_b32 v1, v2, v3, s0
	s_delay_alu instid0(VALU_DEP_1) | instskip(NEXT) | instid1(VALU_DEP_2)
	v_add_nc_u32_e32 v2, s10, v5
	v_add_co_ci_u32_e64 v3, null, v5, v1, vcc_lo
	s_delay_alu instid0(VALU_DEP_2) | instskip(NEXT) | instid1(VALU_DEP_2)
	v_add_co_ci_u32_e64 v1, null, v2, v1, vcc_lo
	v_cmp_ge_i32_e32 vcc_lo, v3, v5
	s_delay_alu instid0(VALU_DEP_2) | instskip(SKIP_1) | instid1(SALU_CYCLE_1)
	v_cmp_ge_i32_e64 s0, v1, v2
	s_and_b32 s0, vcc_lo, s0
	s_and_b32 s12, s0, s11
	s_mov_b32 s11, -1
	s_and_saveexec_b32 s0, s12
	s_cbranch_execz .LBB0_6
; %bb.3:
	v_and_b32_e32 v5, -2, v4
	v_add_nc_u32_e32 v1, 1, v0
	s_add_co_i32 s12, s2, s10
	s_mov_b32 s11, s2
	s_mov_b32 s13, s8
	v_mov_b32_e32 v6, v5
	v_mov_b64_e32 v[2:3], v[0:1]
	s_mov_b32 s15, s12
	s_mov_b32 s14, 0
.LBB0_4:                                ; =>This Inner Loop Header: Depth=1
	s_delay_alu instid0(VALU_DEP_1)
	v_dual_add_nc_u32 v1, s2, v2 :: v_dual_add_nc_u32 v7, s11, v3
	v_dual_add_nc_u32 v24, s15, v3 :: v_dual_add_nc_u32 v25, s12, v2
	s_clause 0x3
	global_load_b128 v[8:11], v1, s[6:7] scale_offset
	global_load_b128 v[12:15], v7, s[6:7] scale_offset
	;; [unrolled: 1-line block ×4, first 2 shown]
	s_wait_xcnt 0x0
	v_dual_add_nc_u32 v24, s8, v2 :: v_dual_add_nc_u32 v1, s13, v3
	v_dual_add_nc_u32 v3, 2, v3 :: v_dual_add_nc_u32 v6, -2, v6
	s_delay_alu instid0(VALU_DEP_2) | instskip(NEXT) | instid1(VALU_DEP_2)
	v_dual_add_nc_u32 v2, 2, v2 :: v_dual_ashrrev_i32 v25, 31, v24
	v_cmp_eq_u32_e32 vcc_lo, 0, v6
	s_or_b32 s14, vcc_lo, s14
	s_wait_loadcnt 0x2
	v_dual_mov_b32 v26, v8 :: v_dual_mov_b32 v27, v12
	v_dual_mov_b32 v12, v9 :: v_dual_mov_b32 v8, v10
	;; [unrolled: 1-line block ×3, first 2 shown]
	s_wait_loadcnt 0x0
	v_dual_mov_b32 v10, v16 :: v_dual_mov_b32 v11, v20
	v_dual_mov_b32 v20, v17 :: v_dual_mov_b32 v16, v18
	;; [unrolled: 1-line block ×3, first 2 shown]
	v_pk_add_f32 v[18:19], v[26:27], 0 op_sel_hi:[1,0]
	v_pk_add_f32 v[12:13], v[12:13], 0 op_sel_hi:[1,0]
	;; [unrolled: 1-line block ×4, first 2 shown]
	v_lshl_add_u64 v[24:25], v[24:25], 4, s[4:5]
	v_pk_add_f32 v[18:19], v[18:19], v[10:11]
	v_pk_add_f32 v[8:9], v[12:13], v[20:21]
	;; [unrolled: 1-line block ×3, first 2 shown]
	s_delay_alu instid0(VALU_DEP_3) | instskip(SKIP_1) | instid1(VALU_DEP_3)
	v_mov_b32_e32 v12, v18
	v_pk_add_f32 v[10:11], v[14:15], v[22:23]
	v_dual_mov_b32 v13, v8 :: v_dual_mov_b32 v14, v16
	s_delay_alu instid0(VALU_DEP_2)
	v_dual_mov_b32 v8, v19 :: v_dual_mov_b32 v15, v10
	v_mov_b32_e32 v10, v17
	s_clause 0x1
	global_store_b128 v[24:25], v[12:15], off
	global_store_b128 v1, v[8:11], s[4:5] scale_offset
	s_wait_xcnt 0x0
	s_and_not1_b32 exec_lo, exec_lo, s14
	s_cbranch_execnz .LBB0_4
; %bb.5:
	s_or_b32 exec_lo, exec_lo, s14
	v_cmp_ne_u32_e32 vcc_lo, v4, v5
	v_add_nc_u32_e32 v0, v0, v5
	s_or_not1_b32 s11, vcc_lo, exec_lo
.LBB0_6:
	s_or_b32 exec_lo, exec_lo, s0
	s_delay_alu instid0(SALU_CYCLE_1) | instskip(SKIP_1) | instid1(SALU_CYCLE_1)
	s_and_not1_b32 s0, s1, exec_lo
	s_and_b32 s1, s11, exec_lo
	s_or_b32 s1, s0, s1
.LBB0_7:
	s_or_b32 exec_lo, exec_lo, s9
	s_delay_alu instid0(SALU_CYCLE_1)
	s_and_b32 exec_lo, exec_lo, s1
	s_cbranch_execz .LBB0_10
; %bb.8:
	v_ashrrev_i32_e32 v1, 31, v0
	s_ashr_i32 s9, s8, 31
	s_mov_b32 s1, 0
	s_lshl_b32 s0, s3, 4
	s_delay_alu instid0(VALU_DEP_1) | instskip(NEXT) | instid1(VALU_DEP_1)
	v_add_nc_u64_e32 v[2:3], s[8:9], v[0:1]
	v_lshl_add_u64 v[2:3], v[2:3], 4, s[4:5]
	s_add_co_i32 s4, s10, s2
	s_mov_b32 s5, s1
	s_delay_alu instid0(VALU_DEP_1)
	v_add_nc_u64_e32 v[2:3], 8, v[2:3]
.LBB0_9:                                ; =>This Inner Loop Header: Depth=1
	v_dual_add_nc_u32 v1, s2, v0 :: v_dual_add_nc_u32 v12, s4, v0
	v_add_nc_u32_e32 v0, s3, v0
	s_clause 0x1
	global_load_b128 v[4:7], v1, s[6:7] scale_offset
	global_load_b128 v[8:11], v12, s[6:7] scale_offset
	v_cmp_le_i32_e32 vcc_lo, s10, v0
	s_or_b32 s5, vcc_lo, s5
	s_wait_loadcnt 0x1
	v_pk_add_f32 v[4:5], v[4:5], 0 op_sel_hi:[1,0]
	v_pk_add_f32 v[6:7], v[6:7], 0 op_sel_hi:[1,0]
	s_wait_loadcnt 0x0
	s_delay_alu instid0(VALU_DEP_2) | instskip(NEXT) | instid1(VALU_DEP_2)
	v_pk_add_f32 v[4:5], v[4:5], v[8:9]
	v_pk_add_f32 v[6:7], v[6:7], v[10:11]
	global_store_b128 v[2:3], v[4:7], off offset:-8
	s_wait_xcnt 0x0
	v_add_nc_u64_e32 v[2:3], s[0:1], v[2:3]
	s_and_not1_b32 exec_lo, exec_lo, s5
	s_cbranch_execnz .LBB0_9
.LBB0_10:
	s_endpgm
	.section	.rodata,"a",@progbits
	.p2align	6, 0x0
	.amdhsa_kernel _Z19moe_sum_kernel_vec4ILi2EEvPfPKfi
		.amdhsa_group_segment_fixed_size 0
		.amdhsa_private_segment_fixed_size 0
		.amdhsa_kernarg_size 280
		.amdhsa_user_sgpr_count 2
		.amdhsa_user_sgpr_dispatch_ptr 0
		.amdhsa_user_sgpr_queue_ptr 0
		.amdhsa_user_sgpr_kernarg_segment_ptr 1
		.amdhsa_user_sgpr_dispatch_id 0
		.amdhsa_user_sgpr_kernarg_preload_length 0
		.amdhsa_user_sgpr_kernarg_preload_offset 0
		.amdhsa_user_sgpr_private_segment_size 0
		.amdhsa_wavefront_size32 1
		.amdhsa_uses_dynamic_stack 0
		.amdhsa_enable_private_segment 0
		.amdhsa_system_sgpr_workgroup_id_x 1
		.amdhsa_system_sgpr_workgroup_id_y 0
		.amdhsa_system_sgpr_workgroup_id_z 0
		.amdhsa_system_sgpr_workgroup_info 0
		.amdhsa_system_vgpr_workitem_id 0
		.amdhsa_next_free_vgpr 28
		.amdhsa_next_free_sgpr 16
		.amdhsa_named_barrier_count 0
		.amdhsa_reserve_vcc 1
		.amdhsa_float_round_mode_32 0
		.amdhsa_float_round_mode_16_64 0
		.amdhsa_float_denorm_mode_32 3
		.amdhsa_float_denorm_mode_16_64 3
		.amdhsa_fp16_overflow 0
		.amdhsa_memory_ordered 1
		.amdhsa_forward_progress 1
		.amdhsa_inst_pref_size 8
		.amdhsa_round_robin_scheduling 0
		.amdhsa_exception_fp_ieee_invalid_op 0
		.amdhsa_exception_fp_denorm_src 0
		.amdhsa_exception_fp_ieee_div_zero 0
		.amdhsa_exception_fp_ieee_overflow 0
		.amdhsa_exception_fp_ieee_underflow 0
		.amdhsa_exception_fp_ieee_inexact 0
		.amdhsa_exception_int_div_zero 0
	.end_amdhsa_kernel
	.section	.text._Z19moe_sum_kernel_vec4ILi2EEvPfPKfi,"axG",@progbits,_Z19moe_sum_kernel_vec4ILi2EEvPfPKfi,comdat
.Lfunc_end0:
	.size	_Z19moe_sum_kernel_vec4ILi2EEvPfPKfi, .Lfunc_end0-_Z19moe_sum_kernel_vec4ILi2EEvPfPKfi
                                        ; -- End function
	.set _Z19moe_sum_kernel_vec4ILi2EEvPfPKfi.num_vgpr, 28
	.set _Z19moe_sum_kernel_vec4ILi2EEvPfPKfi.num_agpr, 0
	.set _Z19moe_sum_kernel_vec4ILi2EEvPfPKfi.numbered_sgpr, 16
	.set _Z19moe_sum_kernel_vec4ILi2EEvPfPKfi.num_named_barrier, 0
	.set _Z19moe_sum_kernel_vec4ILi2EEvPfPKfi.private_seg_size, 0
	.set _Z19moe_sum_kernel_vec4ILi2EEvPfPKfi.uses_vcc, 1
	.set _Z19moe_sum_kernel_vec4ILi2EEvPfPKfi.uses_flat_scratch, 0
	.set _Z19moe_sum_kernel_vec4ILi2EEvPfPKfi.has_dyn_sized_stack, 0
	.set _Z19moe_sum_kernel_vec4ILi2EEvPfPKfi.has_recursion, 0
	.set _Z19moe_sum_kernel_vec4ILi2EEvPfPKfi.has_indirect_call, 0
	.section	.AMDGPU.csdata,"",@progbits
; Kernel info:
; codeLenInByte = 1008
; TotalNumSgprs: 18
; NumVgprs: 28
; ScratchSize: 0
; MemoryBound: 0
; FloatMode: 240
; IeeeMode: 1
; LDSByteSize: 0 bytes/workgroup (compile time only)
; SGPRBlocks: 0
; VGPRBlocks: 1
; NumSGPRsForWavesPerEU: 18
; NumVGPRsForWavesPerEU: 28
; NamedBarCnt: 0
; Occupancy: 16
; WaveLimiterHint : 0
; COMPUTE_PGM_RSRC2:SCRATCH_EN: 0
; COMPUTE_PGM_RSRC2:USER_SGPR: 2
; COMPUTE_PGM_RSRC2:TRAP_HANDLER: 0
; COMPUTE_PGM_RSRC2:TGID_X_EN: 1
; COMPUTE_PGM_RSRC2:TGID_Y_EN: 0
; COMPUTE_PGM_RSRC2:TGID_Z_EN: 0
; COMPUTE_PGM_RSRC2:TIDIG_COMP_CNT: 0
	.section	.text._Z19moe_sum_kernel_vec4ILi3EEvPfPKfi,"axG",@progbits,_Z19moe_sum_kernel_vec4ILi3EEvPfPKfi,comdat
	.protected	_Z19moe_sum_kernel_vec4ILi3EEvPfPKfi ; -- Begin function _Z19moe_sum_kernel_vec4ILi3EEvPfPKfi
	.globl	_Z19moe_sum_kernel_vec4ILi3EEvPfPKfi
	.p2align	8
	.type	_Z19moe_sum_kernel_vec4ILi3EEvPfPKfi,@function
_Z19moe_sum_kernel_vec4ILi3EEvPfPKfi:   ; @_Z19moe_sum_kernel_vec4ILi3EEvPfPKfi
; %bb.0:
	s_load_b32 s2, s[0:1], 0x10
	s_mov_b32 s3, exec_lo
	s_wait_kmcnt 0x0
	s_ashr_i32 s10, s2, 2
	s_delay_alu instid0(SALU_CYCLE_1)
	v_cmpx_gt_i32_e64 s10, v0
	s_cbranch_execz .LBB1_10
; %bb.1:
	s_clause 0x1
	s_load_b32 s11, s[0:1], 0x24
	s_load_b128 s[4:7], s[0:1], 0x0
	s_wait_xcnt 0x0
	s_bfe_u32 s0, ttmp6, 0x4000c
	v_add_max_i32_e64 v1, v0, 1, s10
	s_add_co_i32 s0, s0, 1
	s_and_b32 s1, ttmp6, 15
	s_mul_i32 s0, ttmp9, s0
	s_getreg_b32 s3, hwreg(HW_REG_IB_STS2, 6, 4)
	s_add_co_i32 s0, s1, s0
	s_cmp_eq_u32 s3, 0
	v_sub_nc_u32_e32 v4, v1, v0
	s_mov_b32 s1, 0
	s_cselect_b32 s0, ttmp9, s0
	s_ashr_i32 s3, s2, 31
	s_delay_alu instid0(SALU_CYCLE_1)
	s_mul_u64 s[0:1], s[2:3], s[0:1]
	v_cmp_gt_u32_e64 s12, 6, v4
	s_mul_u64 s[2:3], s[0:1], 3
	s_lshr_b64 s[8:9], s[0:1], 2
	s_lshr_b64 s[2:3], s[2:3], 2
	s_wait_kmcnt 0x0
	s_and_b32 s3, s11, 0xffff
	s_lshl_b32 s11, s10, 1
	s_mov_b32 s9, exec_lo
	v_cmpx_lt_u32_e32 5, v4
	s_cbranch_execz .LBB1_7
; %bb.2:
	s_cvt_f32_u32 s0, s3
	v_add_nc_u32_e32 v2, s3, v0
	s_cmp_eq_u32 s3, 1
	v_add_nc_u32_e32 v6, s2, v0
	v_rcp_iflag_f32_e32 v1, s0
	s_cselect_b32 s13, -1, 0
	v_cmp_gt_i32_e32 vcc_lo, s10, v2
	s_sub_co_i32 s1, 0, s3
	s_delay_alu instid0(TRANS32_DEP_1) | instskip(SKIP_4) | instid1(SALU_CYCLE_2)
	v_readfirstlane_b32 s0, v1
	v_max_i32_e32 v1, s10, v2
	v_add_co_ci_u32_e64 v2, null, s3, v0, vcc_lo
	s_mul_f32 s0, s0, 0x4f7ffffe
	v_sub_nc_u32_e32 v1, v1, v2
	s_cvt_u32_f32 s0, s0
	s_delay_alu instid0(SALU_CYCLE_3) | instskip(NEXT) | instid1(SALU_CYCLE_1)
	s_mul_i32 s1, s1, s0
	s_mul_hi_u32 s1, s0, s1
	s_delay_alu instid0(SALU_CYCLE_1) | instskip(NEXT) | instid1(SALU_CYCLE_1)
	s_add_co_i32 s0, s0, s1
	v_mul_hi_u32 v2, v1, s0
	s_delay_alu instid0(VALU_DEP_1) | instskip(NEXT) | instid1(VALU_DEP_1)
	v_mul_lo_u32 v3, v2, s3
	v_dual_sub_nc_u32 v1, v1, v3 :: v_dual_add_nc_u32 v3, 1, v2
	s_delay_alu instid0(VALU_DEP_1) | instskip(SKIP_1) | instid1(VALU_DEP_1)
	v_subrev_nc_u32_e32 v5, s3, v1
	v_cmp_le_u32_e64 s0, s3, v1
	v_dual_cndmask_b32 v2, v2, v3, s0 :: v_dual_cndmask_b32 v1, v1, v5, s0
	s_delay_alu instid0(VALU_DEP_1) | instskip(NEXT) | instid1(VALU_DEP_2)
	v_dual_add_nc_u32 v5, s8, v0 :: v_dual_add_nc_u32 v3, 1, v2
	v_cmp_le_u32_e64 s0, s3, v1
	s_delay_alu instid0(VALU_DEP_1) | instskip(NEXT) | instid1(VALU_DEP_1)
	v_dual_cndmask_b32 v1, v2, v3, s0 :: v_dual_add_nc_u32 v2, s10, v6
	v_add_co_ci_u32_e64 v3, null, v5, v1, vcc_lo
	v_add_co_ci_u32_e64 v7, null, v6, v1, vcc_lo
	s_delay_alu instid0(VALU_DEP_3) | instskip(SKIP_1) | instid1(VALU_DEP_4)
	v_add_nc_u32_e32 v8, s10, v2
	v_add_co_ci_u32_e64 v9, null, v2, v1, vcc_lo
	v_cmp_ge_i32_e64 s0, v3, v5
	s_delay_alu instid0(VALU_DEP_4) | instskip(NEXT) | instid1(VALU_DEP_4)
	v_cmp_ge_i32_e64 s1, v7, v6
	v_add_co_ci_u32_e64 v1, null, v8, v1, vcc_lo
	s_delay_alu instid0(VALU_DEP_4) | instskip(NEXT) | instid1(VALU_DEP_3)
	v_cmp_ge_i32_e32 vcc_lo, v9, v2
	s_and_b32 s1, s0, s1
	s_delay_alu instid0(VALU_DEP_2) | instskip(SKIP_1) | instid1(SALU_CYCLE_1)
	v_cmp_ge_i32_e64 s0, v1, v8
	s_and_b32 s1, s1, s13
	s_and_b32 s1, s1, vcc_lo
	s_delay_alu instid0(SALU_CYCLE_1)
	s_and_b32 s13, s1, s0
	s_mov_b32 s1, -1
	s_and_saveexec_b32 s0, s13
	s_cbranch_execz .LBB1_6
; %bb.3:
	v_and_b32_e32 v5, -2, v4
	v_add_nc_u32_e32 v1, 1, v0
	s_mov_b32 s1, s11
	s_mov_b32 s13, s2
	;; [unrolled: 1-line block ×3, first 2 shown]
	v_mov_b32_e32 v6, v5
	v_mov_b64_e32 v[2:3], v[0:1]
	s_mov_b32 s16, s8
	s_mov_b32 s15, 0
.LBB1_4:                                ; =>This Inner Loop Header: Depth=1
	s_delay_alu instid0(VALU_DEP_1)
	v_dual_add_nc_u32 v1, s2, v2 :: v_dual_add_nc_u32 v7, s13, v3
	s_clause 0x1
	global_load_b128 v[8:11], v1, s[6:7] scale_offset
	global_load_b128 v[12:15], v7, s[6:7] scale_offset
	v_dual_add_nc_u32 v32, s10, v1 :: v_dual_add_nc_u32 v33, s14, v7
	s_wait_xcnt 0x0
	v_dual_add_nc_u32 v7, s1, v7 :: v_dual_add_nc_u32 v1, s11, v1
	s_clause 0x3
	global_load_b128 v[16:19], v32, s[6:7] scale_offset
	global_load_b128 v[20:23], v33, s[6:7] scale_offset
	;; [unrolled: 1-line block ×4, first 2 shown]
	s_wait_xcnt 0x1
	v_dual_add_nc_u32 v32, s8, v2 :: v_dual_add_nc_u32 v1, s16, v3
	v_dual_add_nc_u32 v3, 2, v3 :: v_dual_add_nc_u32 v6, -2, v6
	s_delay_alu instid0(VALU_DEP_2) | instskip(NEXT) | instid1(VALU_DEP_2)
	v_dual_add_nc_u32 v2, 2, v2 :: v_dual_ashrrev_i32 v33, 31, v32
	v_cmp_eq_u32_e32 vcc_lo, 0, v6
	s_or_b32 s15, vcc_lo, s15
	s_wait_loadcnt 0x4
	v_dual_mov_b32 v34, v8 :: v_dual_mov_b32 v35, v12
	v_dual_mov_b32 v12, v9 :: v_dual_mov_b32 v8, v10
	;; [unrolled: 1-line block ×3, first 2 shown]
	s_delay_alu instid0(VALU_DEP_3)
	v_pk_add_f32 v[10:11], v[34:35], 0 op_sel_hi:[1,0]
	s_wait_loadcnt 0x2
	v_dual_mov_b32 v34, v16 :: v_dual_mov_b32 v35, v20
	v_mov_b32_e32 v20, v17
	v_pk_add_f32 v[12:13], v[12:13], 0 op_sel_hi:[1,0]
	v_pk_add_f32 v[8:9], v[8:9], 0 op_sel_hi:[1,0]
	;; [unrolled: 1-line block ×3, first 2 shown]
	v_dual_mov_b32 v16, v18 :: v_dual_mov_b32 v17, v22
	s_wait_loadcnt 0x1
	v_dual_mov_b32 v22, v19 :: v_dual_mov_b32 v18, v24
	s_wait_loadcnt 0x0
	v_dual_mov_b32 v19, v28 :: v_dual_mov_b32 v28, v25
	v_pk_add_f32 v[10:11], v[10:11], v[34:35]
	v_dual_mov_b32 v24, v26 :: v_dual_mov_b32 v25, v30
	v_pk_add_f32 v[12:13], v[12:13], v[20:21]
	v_pk_add_f32 v[16:17], v[8:9], v[16:17]
	;; [unrolled: 1-line block ×4, first 2 shown]
	v_mov_b32_e32 v30, v27
	v_pk_add_f32 v[8:9], v[12:13], v[28:29]
	v_pk_add_f32 v[16:17], v[16:17], v[24:25]
	v_lshl_add_u64 v[32:33], v[32:33], 4, s[4:5]
	v_mov_b32_e32 v12, v18
	v_pk_add_f32 v[10:11], v[14:15], v[30:31]
	s_delay_alu instid0(VALU_DEP_4) | instskip(NEXT) | instid1(VALU_DEP_2)
	v_dual_mov_b32 v13, v8 :: v_dual_mov_b32 v14, v16
	v_dual_mov_b32 v8, v19 :: v_dual_mov_b32 v15, v10
	v_mov_b32_e32 v10, v17
	s_clause 0x1
	global_store_b128 v[32:33], v[12:15], off
	global_store_b128 v1, v[8:11], s[4:5] scale_offset
	s_wait_xcnt 0x0
	s_and_not1_b32 exec_lo, exec_lo, s15
	s_cbranch_execnz .LBB1_4
; %bb.5:
	s_or_b32 exec_lo, exec_lo, s15
	v_cmp_ne_u32_e32 vcc_lo, v4, v5
	v_add_nc_u32_e32 v0, v0, v5
	s_or_not1_b32 s1, vcc_lo, exec_lo
.LBB1_6:
	s_or_b32 exec_lo, exec_lo, s0
	s_delay_alu instid0(SALU_CYCLE_1) | instskip(SKIP_1) | instid1(SALU_CYCLE_1)
	s_and_not1_b32 s0, s12, exec_lo
	s_and_b32 s1, s1, exec_lo
	s_or_b32 s12, s0, s1
.LBB1_7:
	s_or_b32 exec_lo, exec_lo, s9
	s_delay_alu instid0(SALU_CYCLE_1)
	s_and_b32 exec_lo, exec_lo, s12
	s_cbranch_execz .LBB1_10
; %bb.8:
	v_ashrrev_i32_e32 v1, 31, v0
	s_ashr_i32 s9, s8, 31
	s_mov_b32 s1, 0
	s_lshl_b32 s0, s3, 4
	s_delay_alu instid0(VALU_DEP_1) | instskip(SKIP_1) | instid1(VALU_DEP_1)
	v_add_nc_u64_e32 v[2:3], s[8:9], v[0:1]
	s_mov_b32 s8, s1
	v_lshl_add_u64 v[2:3], v[2:3], 4, s[4:5]
	s_add_co_i32 s4, s10, s2
	s_add_co_i32 s5, s2, s11
	s_delay_alu instid0(VALU_DEP_1)
	v_add_nc_u64_e32 v[2:3], 8, v[2:3]
.LBB1_9:                                ; =>This Inner Loop Header: Depth=1
	v_dual_add_nc_u32 v1, s2, v0 :: v_dual_add_nc_u32 v16, s4, v0
	global_load_b128 v[4:7], v1, s[6:7] scale_offset
	s_wait_xcnt 0x0
	v_dual_add_nc_u32 v1, s5, v0 :: v_dual_add_nc_u32 v0, s3, v0
	s_clause 0x1
	global_load_b128 v[8:11], v16, s[6:7] scale_offset
	global_load_b128 v[12:15], v1, s[6:7] scale_offset
	v_cmp_le_i32_e32 vcc_lo, s10, v0
	s_or_b32 s8, vcc_lo, s8
	s_wait_loadcnt 0x2
	v_pk_add_f32 v[4:5], v[4:5], 0 op_sel_hi:[1,0]
	v_pk_add_f32 v[6:7], v[6:7], 0 op_sel_hi:[1,0]
	s_wait_loadcnt 0x1
	s_delay_alu instid0(VALU_DEP_2) | instskip(NEXT) | instid1(VALU_DEP_2)
	v_pk_add_f32 v[4:5], v[4:5], v[8:9]
	v_pk_add_f32 v[6:7], v[6:7], v[10:11]
	s_wait_loadcnt 0x0
	s_delay_alu instid0(VALU_DEP_2) | instskip(NEXT) | instid1(VALU_DEP_2)
	v_pk_add_f32 v[4:5], v[4:5], v[12:13]
	v_pk_add_f32 v[6:7], v[6:7], v[14:15]
	global_store_b128 v[2:3], v[4:7], off offset:-8
	s_wait_xcnt 0x0
	v_add_nc_u64_e32 v[2:3], s[0:1], v[2:3]
	s_and_not1_b32 exec_lo, exec_lo, s8
	s_cbranch_execnz .LBB1_9
.LBB1_10:
	s_endpgm
	.section	.rodata,"a",@progbits
	.p2align	6, 0x0
	.amdhsa_kernel _Z19moe_sum_kernel_vec4ILi3EEvPfPKfi
		.amdhsa_group_segment_fixed_size 0
		.amdhsa_private_segment_fixed_size 0
		.amdhsa_kernarg_size 280
		.amdhsa_user_sgpr_count 2
		.amdhsa_user_sgpr_dispatch_ptr 0
		.amdhsa_user_sgpr_queue_ptr 0
		.amdhsa_user_sgpr_kernarg_segment_ptr 1
		.amdhsa_user_sgpr_dispatch_id 0
		.amdhsa_user_sgpr_kernarg_preload_length 0
		.amdhsa_user_sgpr_kernarg_preload_offset 0
		.amdhsa_user_sgpr_private_segment_size 0
		.amdhsa_wavefront_size32 1
		.amdhsa_uses_dynamic_stack 0
		.amdhsa_enable_private_segment 0
		.amdhsa_system_sgpr_workgroup_id_x 1
		.amdhsa_system_sgpr_workgroup_id_y 0
		.amdhsa_system_sgpr_workgroup_id_z 0
		.amdhsa_system_sgpr_workgroup_info 0
		.amdhsa_system_vgpr_workitem_id 0
		.amdhsa_next_free_vgpr 36
		.amdhsa_next_free_sgpr 17
		.amdhsa_named_barrier_count 0
		.amdhsa_reserve_vcc 1
		.amdhsa_float_round_mode_32 0
		.amdhsa_float_round_mode_16_64 0
		.amdhsa_float_denorm_mode_32 3
		.amdhsa_float_denorm_mode_16_64 3
		.amdhsa_fp16_overflow 0
		.amdhsa_memory_ordered 1
		.amdhsa_forward_progress 1
		.amdhsa_inst_pref_size 10
		.amdhsa_round_robin_scheduling 0
		.amdhsa_exception_fp_ieee_invalid_op 0
		.amdhsa_exception_fp_denorm_src 0
		.amdhsa_exception_fp_ieee_div_zero 0
		.amdhsa_exception_fp_ieee_overflow 0
		.amdhsa_exception_fp_ieee_underflow 0
		.amdhsa_exception_fp_ieee_inexact 0
		.amdhsa_exception_int_div_zero 0
	.end_amdhsa_kernel
	.section	.text._Z19moe_sum_kernel_vec4ILi3EEvPfPKfi,"axG",@progbits,_Z19moe_sum_kernel_vec4ILi3EEvPfPKfi,comdat
.Lfunc_end1:
	.size	_Z19moe_sum_kernel_vec4ILi3EEvPfPKfi, .Lfunc_end1-_Z19moe_sum_kernel_vec4ILi3EEvPfPKfi
                                        ; -- End function
	.set _Z19moe_sum_kernel_vec4ILi3EEvPfPKfi.num_vgpr, 36
	.set _Z19moe_sum_kernel_vec4ILi3EEvPfPKfi.num_agpr, 0
	.set _Z19moe_sum_kernel_vec4ILi3EEvPfPKfi.numbered_sgpr, 17
	.set _Z19moe_sum_kernel_vec4ILi3EEvPfPKfi.num_named_barrier, 0
	.set _Z19moe_sum_kernel_vec4ILi3EEvPfPKfi.private_seg_size, 0
	.set _Z19moe_sum_kernel_vec4ILi3EEvPfPKfi.uses_vcc, 1
	.set _Z19moe_sum_kernel_vec4ILi3EEvPfPKfi.uses_flat_scratch, 0
	.set _Z19moe_sum_kernel_vec4ILi3EEvPfPKfi.has_dyn_sized_stack, 0
	.set _Z19moe_sum_kernel_vec4ILi3EEvPfPKfi.has_recursion, 0
	.set _Z19moe_sum_kernel_vec4ILi3EEvPfPKfi.has_indirect_call, 0
	.section	.AMDGPU.csdata,"",@progbits
; Kernel info:
; codeLenInByte = 1236
; TotalNumSgprs: 19
; NumVgprs: 36
; ScratchSize: 0
; MemoryBound: 0
; FloatMode: 240
; IeeeMode: 1
; LDSByteSize: 0 bytes/workgroup (compile time only)
; SGPRBlocks: 0
; VGPRBlocks: 2
; NumSGPRsForWavesPerEU: 19
; NumVGPRsForWavesPerEU: 36
; NamedBarCnt: 0
; Occupancy: 16
; WaveLimiterHint : 0
; COMPUTE_PGM_RSRC2:SCRATCH_EN: 0
; COMPUTE_PGM_RSRC2:USER_SGPR: 2
; COMPUTE_PGM_RSRC2:TRAP_HANDLER: 0
; COMPUTE_PGM_RSRC2:TGID_X_EN: 1
; COMPUTE_PGM_RSRC2:TGID_Y_EN: 0
; COMPUTE_PGM_RSRC2:TGID_Z_EN: 0
; COMPUTE_PGM_RSRC2:TIDIG_COMP_CNT: 0
	.section	.text._Z19moe_sum_kernel_vec4ILi4EEvPfPKfi,"axG",@progbits,_Z19moe_sum_kernel_vec4ILi4EEvPfPKfi,comdat
	.protected	_Z19moe_sum_kernel_vec4ILi4EEvPfPKfi ; -- Begin function _Z19moe_sum_kernel_vec4ILi4EEvPfPKfi
	.globl	_Z19moe_sum_kernel_vec4ILi4EEvPfPKfi
	.p2align	8
	.type	_Z19moe_sum_kernel_vec4ILi4EEvPfPKfi,@function
_Z19moe_sum_kernel_vec4ILi4EEvPfPKfi:   ; @_Z19moe_sum_kernel_vec4ILi4EEvPfPKfi
; %bb.0:
	s_load_b32 s2, s[0:1], 0x10
	s_mov_b32 s3, exec_lo
	s_wait_kmcnt 0x0
	s_ashr_i32 s8, s2, 2
	s_delay_alu instid0(SALU_CYCLE_1)
	v_cmpx_gt_i32_e64 s8, v0
	s_cbranch_execz .LBB2_10
; %bb.1:
	s_clause 0x1
	s_load_b32 s10, s[0:1], 0x24
	s_load_b128 s[4:7], s[0:1], 0x0
	s_wait_xcnt 0x0
	s_bfe_u32 s0, ttmp6, 0x4000c
	v_add_max_i32_e64 v1, v0, 1, s8
	s_add_co_i32 s0, s0, 1
	s_and_b32 s1, ttmp6, 15
	s_mul_i32 s0, ttmp9, s0
	s_getreg_b32 s3, hwreg(HW_REG_IB_STS2, 6, 4)
	v_sub_nc_u32_e32 v4, v1, v0
	s_add_co_i32 s0, s1, s0
	s_cmp_eq_u32 s3, 0
	s_mov_b32 s1, 0
	s_cselect_b32 s0, ttmp9, s0
	s_ashr_i32 s3, s2, 31
	v_cmp_gt_u32_e64 s13, 6, v4
	s_mul_u64 s[14:15], s[2:3], s[0:1]
	s_mul_i32 s9, s2, s0
	s_lshr_b64 s[2:3], s[14:15], 2
	s_lshl_b32 s11, s8, 1
	s_mul_i32 s12, s8, 3
	s_wait_kmcnt 0x0
	s_and_b32 s10, s10, 0xffff
	s_mov_b32 s3, exec_lo
	v_cmpx_lt_u32_e32 5, v4
	s_cbranch_execz .LBB2_7
; %bb.2:
	s_cvt_f32_u32 s0, s10
	v_add_nc_u32_e32 v2, s10, v0
	s_cmp_eq_u32 s10, 1
	v_add_nc_u32_e32 v6, s2, v0
	v_rcp_iflag_f32_e32 v1, s0
	s_cselect_b32 s14, -1, 0
	v_cmp_gt_i32_e32 vcc_lo, s8, v2
	s_sub_co_i32 s1, 0, s10
	s_delay_alu instid0(TRANS32_DEP_1) | instskip(SKIP_4) | instid1(SALU_CYCLE_2)
	v_readfirstlane_b32 s0, v1
	v_max_i32_e32 v1, s8, v2
	v_add_co_ci_u32_e64 v2, null, s10, v0, vcc_lo
	s_mul_f32 s0, s0, 0x4f7ffffe
	v_sub_nc_u32_e32 v1, v1, v2
	s_cvt_u32_f32 s0, s0
	s_delay_alu instid0(SALU_CYCLE_3) | instskip(NEXT) | instid1(SALU_CYCLE_1)
	s_mul_i32 s1, s1, s0
	s_mul_hi_u32 s1, s0, s1
	s_delay_alu instid0(SALU_CYCLE_1) | instskip(NEXT) | instid1(SALU_CYCLE_1)
	s_add_co_i32 s0, s0, s1
	v_mul_hi_u32 v2, v1, s0
	s_delay_alu instid0(VALU_DEP_1) | instskip(NEXT) | instid1(VALU_DEP_1)
	v_mul_lo_u32 v3, v2, s10
	v_dual_sub_nc_u32 v1, v1, v3 :: v_dual_add_nc_u32 v3, 1, v2
	s_delay_alu instid0(VALU_DEP_1) | instskip(SKIP_1) | instid1(VALU_DEP_1)
	v_subrev_nc_u32_e32 v5, s10, v1
	v_cmp_le_u32_e64 s0, s10, v1
	v_dual_cndmask_b32 v2, v2, v3, s0 :: v_dual_cndmask_b32 v1, v1, v5, s0
	s_delay_alu instid0(VALU_DEP_1) | instskip(NEXT) | instid1(VALU_DEP_2)
	v_dual_add_nc_u32 v5, s9, v0 :: v_dual_add_nc_u32 v3, 1, v2
	v_cmp_le_u32_e64 s0, s10, v1
	s_delay_alu instid0(VALU_DEP_1) | instskip(SKIP_1) | instid1(VALU_DEP_2)
	v_dual_cndmask_b32 v1, v2, v3, s0 :: v_dual_add_nc_u32 v2, s8, v5
	v_add_nc_u32_e32 v3, s11, v5
	v_add_co_ci_u32_e64 v7, null, v6, v1, vcc_lo
	v_add_co_ci_u32_e64 v8, null, v5, v1, vcc_lo
	s_delay_alu instid0(VALU_DEP_3) | instskip(SKIP_1) | instid1(VALU_DEP_4)
	v_add_nc_u32_e32 v9, s8, v3
	v_add_co_ci_u32_e64 v10, null, v2, v1, vcc_lo
	v_cmp_ge_i32_e64 s0, v7, v6
	s_delay_alu instid0(VALU_DEP_4) | instskip(SKIP_3) | instid1(VALU_DEP_4)
	v_cmp_ge_i32_e64 s1, v8, v5
	v_add_co_ci_u32_e64 v5, null, v3, v1, vcc_lo
	v_add_co_ci_u32_e64 v1, null, v9, v1, vcc_lo
	v_cmp_ge_i32_e32 vcc_lo, v10, v2
	s_and_b32 s1, s0, s1
	s_delay_alu instid0(VALU_DEP_3) | instskip(SKIP_3) | instid1(SALU_CYCLE_1)
	v_cmp_ge_i32_e64 s0, v5, v3
	s_and_b32 s14, s1, s14
	v_cmp_ge_i32_e64 s1, v1, v9
	s_and_b32 s14, s14, vcc_lo
	s_and_b32 s0, s14, s0
	s_delay_alu instid0(SALU_CYCLE_1)
	s_and_b32 s14, s0, s1
	s_mov_b32 s1, -1
	s_and_saveexec_b32 s0, s14
	s_cbranch_execz .LBB2_6
; %bb.3:
	v_and_b32_e32 v5, -2, v4
	v_add_nc_u32_e32 v1, 1, v0
	s_mov_b32 s1, s11
	s_mov_b32 s14, s12
	;; [unrolled: 1-line block ×3, first 2 shown]
	v_mov_b32_e32 v6, v5
	v_mov_b64_e32 v[2:3], v[0:1]
	s_mov_b32 s16, s8
	s_mov_b32 s18, s2
	;; [unrolled: 1-line block ×3, first 2 shown]
.LBB2_4:                                ; =>This Inner Loop Header: Depth=1
	s_delay_alu instid0(VALU_DEP_1)
	v_dual_add_nc_u32 v1, s9, v2 :: v_dual_add_nc_u32 v7, s15, v3
	s_clause 0x1
	global_load_b128 v[8:11], v1, s[6:7] scale_offset
	global_load_b128 v[12:15], v7, s[6:7] scale_offset
	v_dual_add_nc_u32 v40, s16, v7 :: v_dual_add_nc_u32 v41, s8, v1
	v_dual_add_nc_u32 v42, s1, v7 :: v_dual_add_nc_u32 v43, s11, v1
	s_wait_xcnt 0x0
	v_dual_add_nc_u32 v7, s14, v7 :: v_dual_add_nc_u32 v1, s12, v1
	s_clause 0x5
	global_load_b128 v[16:19], v41, s[6:7] scale_offset
	global_load_b128 v[20:23], v40, s[6:7] scale_offset
	;; [unrolled: 1-line block ×6, first 2 shown]
	s_wait_xcnt 0x1
	v_dual_add_nc_u32 v40, s2, v2 :: v_dual_add_nc_u32 v1, s18, v3
	v_dual_add_nc_u32 v3, 2, v3 :: v_dual_add_nc_u32 v6, -2, v6
	s_delay_alu instid0(VALU_DEP_2) | instskip(NEXT) | instid1(VALU_DEP_2)
	v_dual_add_nc_u32 v2, 2, v2 :: v_dual_ashrrev_i32 v41, 31, v40
	v_cmp_eq_u32_e32 vcc_lo, 0, v6
	s_or_b32 s17, vcc_lo, s17
	s_wait_loadcnt 0x6
	v_dual_mov_b32 v42, v8 :: v_dual_mov_b32 v43, v12
	v_dual_mov_b32 v12, v9 :: v_dual_mov_b32 v8, v10
	v_dual_mov_b32 v9, v14 :: v_dual_mov_b32 v14, v11
	s_delay_alu instid0(VALU_DEP_3)
	v_pk_add_f32 v[10:11], v[42:43], 0 op_sel_hi:[1,0]
	s_wait_loadcnt 0x4
	v_dual_mov_b32 v42, v16 :: v_dual_mov_b32 v43, v20
	v_mov_b32_e32 v20, v17
	v_pk_add_f32 v[12:13], v[12:13], 0 op_sel_hi:[1,0]
	v_pk_add_f32 v[8:9], v[8:9], 0 op_sel_hi:[1,0]
	;; [unrolled: 1-line block ×3, first 2 shown]
	v_dual_mov_b32 v16, v18 :: v_dual_mov_b32 v17, v22
	s_wait_loadcnt 0x3
	v_dual_mov_b32 v22, v19 :: v_dual_mov_b32 v18, v24
	s_wait_loadcnt 0x2
	v_dual_mov_b32 v19, v28 :: v_dual_mov_b32 v28, v25
	v_pk_add_f32 v[10:11], v[10:11], v[42:43]
	v_dual_mov_b32 v24, v26 :: v_dual_mov_b32 v25, v30
	s_wait_loadcnt 0x1
	v_dual_mov_b32 v30, v27 :: v_dual_mov_b32 v26, v32
	s_wait_loadcnt 0x0
	v_dual_mov_b32 v27, v36 :: v_dual_mov_b32 v36, v33
	v_pk_add_f32 v[12:13], v[12:13], v[20:21]
	v_pk_add_f32 v[8:9], v[8:9], v[16:17]
	;; [unrolled: 1-line block ×4, first 2 shown]
	v_dual_mov_b32 v32, v34 :: v_dual_mov_b32 v33, v38
	v_pk_add_f32 v[12:13], v[12:13], v[28:29]
	v_pk_add_f32 v[16:17], v[8:9], v[24:25]
	;; [unrolled: 1-line block ×4, first 2 shown]
	v_mov_b32_e32 v38, v35
	v_pk_add_f32 v[8:9], v[12:13], v[36:37]
	v_pk_add_f32 v[16:17], v[16:17], v[32:33]
	v_lshl_add_u64 v[40:41], v[40:41], 4, s[4:5]
	v_mov_b32_e32 v12, v18
	v_pk_add_f32 v[10:11], v[14:15], v[38:39]
	s_delay_alu instid0(VALU_DEP_4) | instskip(NEXT) | instid1(VALU_DEP_2)
	v_dual_mov_b32 v13, v8 :: v_dual_mov_b32 v14, v16
	v_dual_mov_b32 v8, v19 :: v_dual_mov_b32 v15, v10
	v_mov_b32_e32 v10, v17
	s_clause 0x1
	global_store_b128 v[40:41], v[12:15], off
	global_store_b128 v1, v[8:11], s[4:5] scale_offset
	s_wait_xcnt 0x0
	s_and_not1_b32 exec_lo, exec_lo, s17
	s_cbranch_execnz .LBB2_4
; %bb.5:
	s_or_b32 exec_lo, exec_lo, s17
	v_cmp_ne_u32_e32 vcc_lo, v4, v5
	v_add_nc_u32_e32 v0, v0, v5
	s_or_not1_b32 s1, vcc_lo, exec_lo
.LBB2_6:
	s_or_b32 exec_lo, exec_lo, s0
	s_delay_alu instid0(SALU_CYCLE_1) | instskip(SKIP_1) | instid1(SALU_CYCLE_1)
	s_and_not1_b32 s0, s13, exec_lo
	s_and_b32 s1, s1, exec_lo
	s_or_b32 s13, s0, s1
.LBB2_7:
	s_or_b32 exec_lo, exec_lo, s3
	s_delay_alu instid0(SALU_CYCLE_1)
	s_and_b32 exec_lo, exec_lo, s13
	s_cbranch_execz .LBB2_10
; %bb.8:
	v_ashrrev_i32_e32 v1, 31, v0
	s_ashr_i32 s3, s2, 31
	s_mov_b32 s1, 0
	s_lshl_b32 s0, s10, 4
	s_delay_alu instid0(VALU_DEP_1) | instskip(SKIP_2) | instid1(VALU_DEP_1)
	v_add_nc_u64_e32 v[2:3], s[2:3], v[0:1]
	s_add_co_i32 s2, s8, s9
	s_add_co_i32 s3, s11, s9
	v_lshl_add_u64 v[2:3], v[2:3], 4, s[4:5]
	s_add_co_i32 s4, s12, s9
	s_mov_b32 s5, s1
	s_delay_alu instid0(VALU_DEP_1)
	v_add_nc_u64_e32 v[2:3], 8, v[2:3]
.LBB2_9:                                ; =>This Inner Loop Header: Depth=1
	v_dual_add_nc_u32 v1, s9, v0 :: v_dual_add_nc_u32 v8, s2, v0
	v_add_nc_u32_e32 v20, s4, v0
	s_clause 0x1
	global_load_b128 v[4:7], v1, s[6:7] scale_offset
	global_load_b128 v[8:11], v8, s[6:7] scale_offset
	s_wait_xcnt 0x1
	v_dual_add_nc_u32 v1, s3, v0 :: v_dual_add_nc_u32 v0, s10, v0
	s_clause 0x1
	global_load_b128 v[12:15], v1, s[6:7] scale_offset
	global_load_b128 v[16:19], v20, s[6:7] scale_offset
	v_cmp_le_i32_e32 vcc_lo, s8, v0
	s_or_b32 s5, vcc_lo, s5
	s_wait_loadcnt 0x3
	v_pk_add_f32 v[4:5], v[4:5], 0 op_sel_hi:[1,0]
	v_pk_add_f32 v[6:7], v[6:7], 0 op_sel_hi:[1,0]
	s_wait_loadcnt 0x2
	s_delay_alu instid0(VALU_DEP_2) | instskip(NEXT) | instid1(VALU_DEP_2)
	v_pk_add_f32 v[4:5], v[4:5], v[8:9]
	v_pk_add_f32 v[6:7], v[6:7], v[10:11]
	s_wait_loadcnt 0x1
	s_delay_alu instid0(VALU_DEP_2) | instskip(NEXT) | instid1(VALU_DEP_2)
	v_pk_add_f32 v[4:5], v[4:5], v[12:13]
	v_pk_add_f32 v[6:7], v[6:7], v[14:15]
	;; [unrolled: 4-line block ×3, first 2 shown]
	global_store_b128 v[2:3], v[4:7], off offset:-8
	s_wait_xcnt 0x0
	v_add_nc_u64_e32 v[2:3], s[0:1], v[2:3]
	s_and_not1_b32 exec_lo, exec_lo, s5
	s_cbranch_execnz .LBB2_9
.LBB2_10:
	s_endpgm
	.section	.rodata,"a",@progbits
	.p2align	6, 0x0
	.amdhsa_kernel _Z19moe_sum_kernel_vec4ILi4EEvPfPKfi
		.amdhsa_group_segment_fixed_size 0
		.amdhsa_private_segment_fixed_size 0
		.amdhsa_kernarg_size 280
		.amdhsa_user_sgpr_count 2
		.amdhsa_user_sgpr_dispatch_ptr 0
		.amdhsa_user_sgpr_queue_ptr 0
		.amdhsa_user_sgpr_kernarg_segment_ptr 1
		.amdhsa_user_sgpr_dispatch_id 0
		.amdhsa_user_sgpr_kernarg_preload_length 0
		.amdhsa_user_sgpr_kernarg_preload_offset 0
		.amdhsa_user_sgpr_private_segment_size 0
		.amdhsa_wavefront_size32 1
		.amdhsa_uses_dynamic_stack 0
		.amdhsa_enable_private_segment 0
		.amdhsa_system_sgpr_workgroup_id_x 1
		.amdhsa_system_sgpr_workgroup_id_y 0
		.amdhsa_system_sgpr_workgroup_id_z 0
		.amdhsa_system_sgpr_workgroup_info 0
		.amdhsa_system_vgpr_workitem_id 0
		.amdhsa_next_free_vgpr 44
		.amdhsa_next_free_sgpr 19
		.amdhsa_named_barrier_count 0
		.amdhsa_reserve_vcc 1
		.amdhsa_float_round_mode_32 0
		.amdhsa_float_round_mode_16_64 0
		.amdhsa_float_denorm_mode_32 3
		.amdhsa_float_denorm_mode_16_64 3
		.amdhsa_fp16_overflow 0
		.amdhsa_memory_ordered 1
		.amdhsa_forward_progress 1
		.amdhsa_inst_pref_size 11
		.amdhsa_round_robin_scheduling 0
		.amdhsa_exception_fp_ieee_invalid_op 0
		.amdhsa_exception_fp_denorm_src 0
		.amdhsa_exception_fp_ieee_div_zero 0
		.amdhsa_exception_fp_ieee_overflow 0
		.amdhsa_exception_fp_ieee_underflow 0
		.amdhsa_exception_fp_ieee_inexact 0
		.amdhsa_exception_int_div_zero 0
	.end_amdhsa_kernel
	.section	.text._Z19moe_sum_kernel_vec4ILi4EEvPfPKfi,"axG",@progbits,_Z19moe_sum_kernel_vec4ILi4EEvPfPKfi,comdat
.Lfunc_end2:
	.size	_Z19moe_sum_kernel_vec4ILi4EEvPfPKfi, .Lfunc_end2-_Z19moe_sum_kernel_vec4ILi4EEvPfPKfi
                                        ; -- End function
	.set _Z19moe_sum_kernel_vec4ILi4EEvPfPKfi.num_vgpr, 44
	.set _Z19moe_sum_kernel_vec4ILi4EEvPfPKfi.num_agpr, 0
	.set _Z19moe_sum_kernel_vec4ILi4EEvPfPKfi.numbered_sgpr, 19
	.set _Z19moe_sum_kernel_vec4ILi4EEvPfPKfi.num_named_barrier, 0
	.set _Z19moe_sum_kernel_vec4ILi4EEvPfPKfi.private_seg_size, 0
	.set _Z19moe_sum_kernel_vec4ILi4EEvPfPKfi.uses_vcc, 1
	.set _Z19moe_sum_kernel_vec4ILi4EEvPfPKfi.uses_flat_scratch, 0
	.set _Z19moe_sum_kernel_vec4ILi4EEvPfPKfi.has_dyn_sized_stack, 0
	.set _Z19moe_sum_kernel_vec4ILi4EEvPfPKfi.has_recursion, 0
	.set _Z19moe_sum_kernel_vec4ILi4EEvPfPKfi.has_indirect_call, 0
	.section	.AMDGPU.csdata,"",@progbits
; Kernel info:
; codeLenInByte = 1408
; TotalNumSgprs: 21
; NumVgprs: 44
; ScratchSize: 0
; MemoryBound: 0
; FloatMode: 240
; IeeeMode: 1
; LDSByteSize: 0 bytes/workgroup (compile time only)
; SGPRBlocks: 0
; VGPRBlocks: 2
; NumSGPRsForWavesPerEU: 21
; NumVGPRsForWavesPerEU: 44
; NamedBarCnt: 0
; Occupancy: 16
; WaveLimiterHint : 0
; COMPUTE_PGM_RSRC2:SCRATCH_EN: 0
; COMPUTE_PGM_RSRC2:USER_SGPR: 2
; COMPUTE_PGM_RSRC2:TRAP_HANDLER: 0
; COMPUTE_PGM_RSRC2:TGID_X_EN: 1
; COMPUTE_PGM_RSRC2:TGID_Y_EN: 0
; COMPUTE_PGM_RSRC2:TGID_Z_EN: 0
; COMPUTE_PGM_RSRC2:TIDIG_COMP_CNT: 0
	.section	.text._Z14moe_sum_kernelIfLi2EEvPT_PKS0_i,"axG",@progbits,_Z14moe_sum_kernelIfLi2EEvPT_PKS0_i,comdat
	.protected	_Z14moe_sum_kernelIfLi2EEvPT_PKS0_i ; -- Begin function _Z14moe_sum_kernelIfLi2EEvPT_PKS0_i
	.globl	_Z14moe_sum_kernelIfLi2EEvPT_PKS0_i
	.p2align	8
	.type	_Z14moe_sum_kernelIfLi2EEvPT_PKS0_i,@function
_Z14moe_sum_kernelIfLi2EEvPT_PKS0_i:    ; @_Z14moe_sum_kernelIfLi2EEvPT_PKS0_i
; %bb.0:
	s_load_b32 s2, s[0:1], 0x10
	s_mov_b32 s3, exec_lo
	s_wait_kmcnt 0x0
	v_cmpx_gt_i32_e64 s2, v0
	s_cbranch_execz .LBB3_3
; %bb.1:
	s_clause 0x1
	s_load_b128 s[4:7], s[0:1], 0x0
	s_load_b32 s12, s[0:1], 0x24
	s_wait_xcnt 0x0
	s_bfe_u32 s0, ttmp6, 0x4000c
	s_and_b32 s1, ttmp6, 15
	s_add_co_i32 s0, s0, 1
	s_getreg_b32 s8, hwreg(HW_REG_IB_STS2, 6, 4)
	s_mul_i32 s0, ttmp9, s0
	s_mov_b32 s3, 0
	s_add_co_i32 s0, s1, s0
	s_cmp_eq_u32 s8, 0
	s_mov_b32 s1, s3
	s_cselect_b32 s0, ttmp9, s0
	s_delay_alu instid0(SALU_CYCLE_1) | instskip(NEXT) | instid1(SALU_CYCLE_1)
	s_mul_u64 s[0:1], s[2:3], s[0:1]
	s_lshl_b64 s[8:9], s[0:1], 3
	s_lshl_b64 s[10:11], s[0:1], 2
	s_wait_kmcnt 0x0
	s_add_nc_u64 s[0:1], s[6:7], s[8:9]
	s_add_nc_u64 s[4:5], s[4:5], s[10:11]
	s_and_b32 s6, s12, 0xffff
	s_mov_b32 s7, s3
.LBB3_2:                                ; =>This Inner Loop Header: Depth=1
	v_ashrrev_i32_e32 v1, 31, v0
	s_delay_alu instid0(VALU_DEP_1) | instskip(NEXT) | instid1(VALU_DEP_1)
	v_lshl_add_u64 v[2:3], v[0:1], 2, s[0:1]
	v_lshl_add_u64 v[2:3], s[2:3], 2, v[2:3]
	s_clause 0x1
	global_load_b32 v1, v0, s[0:1] scale_offset
	global_load_b32 v4, v[2:3], off
	s_wait_loadcnt 0x1
	v_add_f32_e32 v1, 0, v1
	s_wait_loadcnt 0x0
	s_delay_alu instid0(VALU_DEP_1) | instskip(SKIP_3) | instid1(VALU_DEP_1)
	v_add_f32_e32 v1, v1, v4
	global_store_b32 v0, v1, s[4:5] scale_offset
	s_wait_xcnt 0x0
	v_add_nc_u32_e32 v0, s6, v0
	v_cmp_le_i32_e32 vcc_lo, s2, v0
	s_or_b32 s7, vcc_lo, s7
	s_delay_alu instid0(SALU_CYCLE_1)
	s_and_not1_b32 exec_lo, exec_lo, s7
	s_cbranch_execnz .LBB3_2
.LBB3_3:
	s_endpgm
	.section	.rodata,"a",@progbits
	.p2align	6, 0x0
	.amdhsa_kernel _Z14moe_sum_kernelIfLi2EEvPT_PKS0_i
		.amdhsa_group_segment_fixed_size 0
		.amdhsa_private_segment_fixed_size 0
		.amdhsa_kernarg_size 280
		.amdhsa_user_sgpr_count 2
		.amdhsa_user_sgpr_dispatch_ptr 0
		.amdhsa_user_sgpr_queue_ptr 0
		.amdhsa_user_sgpr_kernarg_segment_ptr 1
		.amdhsa_user_sgpr_dispatch_id 0
		.amdhsa_user_sgpr_kernarg_preload_length 0
		.amdhsa_user_sgpr_kernarg_preload_offset 0
		.amdhsa_user_sgpr_private_segment_size 0
		.amdhsa_wavefront_size32 1
		.amdhsa_uses_dynamic_stack 0
		.amdhsa_enable_private_segment 0
		.amdhsa_system_sgpr_workgroup_id_x 1
		.amdhsa_system_sgpr_workgroup_id_y 0
		.amdhsa_system_sgpr_workgroup_id_z 0
		.amdhsa_system_sgpr_workgroup_info 0
		.amdhsa_system_vgpr_workitem_id 0
		.amdhsa_next_free_vgpr 5
		.amdhsa_next_free_sgpr 13
		.amdhsa_named_barrier_count 0
		.amdhsa_reserve_vcc 1
		.amdhsa_float_round_mode_32 0
		.amdhsa_float_round_mode_16_64 0
		.amdhsa_float_denorm_mode_32 3
		.amdhsa_float_denorm_mode_16_64 3
		.amdhsa_fp16_overflow 0
		.amdhsa_memory_ordered 1
		.amdhsa_forward_progress 1
		.amdhsa_inst_pref_size 2
		.amdhsa_round_robin_scheduling 0
		.amdhsa_exception_fp_ieee_invalid_op 0
		.amdhsa_exception_fp_denorm_src 0
		.amdhsa_exception_fp_ieee_div_zero 0
		.amdhsa_exception_fp_ieee_overflow 0
		.amdhsa_exception_fp_ieee_underflow 0
		.amdhsa_exception_fp_ieee_inexact 0
		.amdhsa_exception_int_div_zero 0
	.end_amdhsa_kernel
	.section	.text._Z14moe_sum_kernelIfLi2EEvPT_PKS0_i,"axG",@progbits,_Z14moe_sum_kernelIfLi2EEvPT_PKS0_i,comdat
.Lfunc_end3:
	.size	_Z14moe_sum_kernelIfLi2EEvPT_PKS0_i, .Lfunc_end3-_Z14moe_sum_kernelIfLi2EEvPT_PKS0_i
                                        ; -- End function
	.set _Z14moe_sum_kernelIfLi2EEvPT_PKS0_i.num_vgpr, 5
	.set _Z14moe_sum_kernelIfLi2EEvPT_PKS0_i.num_agpr, 0
	.set _Z14moe_sum_kernelIfLi2EEvPT_PKS0_i.numbered_sgpr, 13
	.set _Z14moe_sum_kernelIfLi2EEvPT_PKS0_i.num_named_barrier, 0
	.set _Z14moe_sum_kernelIfLi2EEvPT_PKS0_i.private_seg_size, 0
	.set _Z14moe_sum_kernelIfLi2EEvPT_PKS0_i.uses_vcc, 1
	.set _Z14moe_sum_kernelIfLi2EEvPT_PKS0_i.uses_flat_scratch, 0
	.set _Z14moe_sum_kernelIfLi2EEvPT_PKS0_i.has_dyn_sized_stack, 0
	.set _Z14moe_sum_kernelIfLi2EEvPT_PKS0_i.has_recursion, 0
	.set _Z14moe_sum_kernelIfLi2EEvPT_PKS0_i.has_indirect_call, 0
	.section	.AMDGPU.csdata,"",@progbits
; Kernel info:
; codeLenInByte = 252
; TotalNumSgprs: 15
; NumVgprs: 5
; ScratchSize: 0
; MemoryBound: 0
; FloatMode: 240
; IeeeMode: 1
; LDSByteSize: 0 bytes/workgroup (compile time only)
; SGPRBlocks: 0
; VGPRBlocks: 0
; NumSGPRsForWavesPerEU: 15
; NumVGPRsForWavesPerEU: 5
; NamedBarCnt: 0
; Occupancy: 16
; WaveLimiterHint : 0
; COMPUTE_PGM_RSRC2:SCRATCH_EN: 0
; COMPUTE_PGM_RSRC2:USER_SGPR: 2
; COMPUTE_PGM_RSRC2:TRAP_HANDLER: 0
; COMPUTE_PGM_RSRC2:TGID_X_EN: 1
; COMPUTE_PGM_RSRC2:TGID_Y_EN: 0
; COMPUTE_PGM_RSRC2:TGID_Z_EN: 0
; COMPUTE_PGM_RSRC2:TIDIG_COMP_CNT: 0
	.section	.text._Z14moe_sum_kernelIfLi3EEvPT_PKS0_i,"axG",@progbits,_Z14moe_sum_kernelIfLi3EEvPT_PKS0_i,comdat
	.protected	_Z14moe_sum_kernelIfLi3EEvPT_PKS0_i ; -- Begin function _Z14moe_sum_kernelIfLi3EEvPT_PKS0_i
	.globl	_Z14moe_sum_kernelIfLi3EEvPT_PKS0_i
	.p2align	8
	.type	_Z14moe_sum_kernelIfLi3EEvPT_PKS0_i,@function
_Z14moe_sum_kernelIfLi3EEvPT_PKS0_i:    ; @_Z14moe_sum_kernelIfLi3EEvPT_PKS0_i
; %bb.0:
	s_load_b32 s2, s[0:1], 0x10
	s_mov_b32 s3, exec_lo
	s_wait_kmcnt 0x0
	v_cmpx_gt_i32_e64 s2, v0
	s_cbranch_execz .LBB4_3
; %bb.1:
	s_clause 0x1
	s_load_b128 s[8:11], s[0:1], 0x0
	s_load_b32 s14, s[0:1], 0x24
	s_wait_xcnt 0x0
	s_bfe_u32 s0, ttmp6, 0x4000c
	s_and_b32 s1, ttmp6, 15
	s_add_co_i32 s0, s0, 1
	s_getreg_b32 s4, hwreg(HW_REG_IB_STS2, 6, 4)
	s_mul_i32 s0, ttmp9, s0
	s_mov_b32 s3, 0
	s_add_co_i32 s1, s1, s0
	s_cmp_eq_u32 s4, 0
	s_mov_b32 s5, s3
	s_cselect_b32 s4, ttmp9, s1
	s_mov_b32 s1, s3
	s_mul_u64 s[4:5], s[2:3], s[4:5]
	s_lshl_b32 s0, s2, 1
	s_mul_u64 s[6:7], s[4:5], 12
	s_lshl_b64 s[12:13], s[4:5], 2
	s_wait_kmcnt 0x0
	s_add_nc_u64 s[4:5], s[10:11], s[6:7]
	s_add_nc_u64 s[6:7], s[8:9], s[12:13]
	s_and_b32 s8, s14, 0xffff
	s_mov_b32 s9, s3
.LBB4_2:                                ; =>This Inner Loop Header: Depth=1
	v_ashrrev_i32_e32 v1, 31, v0
	s_delay_alu instid0(VALU_DEP_1)
	v_lshl_add_u64 v[2:3], v[0:1], 2, s[4:5]
	global_load_b32 v1, v0, s[4:5] scale_offset
	v_lshl_add_u64 v[4:5], s[2:3], 2, v[2:3]
	v_lshl_add_u64 v[2:3], s[0:1], 2, v[2:3]
	s_clause 0x1
	global_load_b32 v6, v[4:5], off
	global_load_b32 v7, v[2:3], off
	s_wait_loadcnt 0x2
	v_add_f32_e32 v1, 0, v1
	s_wait_loadcnt 0x1
	s_delay_alu instid0(VALU_DEP_1) | instskip(SKIP_1) | instid1(VALU_DEP_1)
	v_add_f32_e32 v1, v1, v6
	s_wait_loadcnt 0x0
	v_add_f32_e32 v1, v1, v7
	global_store_b32 v0, v1, s[6:7] scale_offset
	s_wait_xcnt 0x0
	v_add_nc_u32_e32 v0, s8, v0
	s_delay_alu instid0(VALU_DEP_1) | instskip(SKIP_1) | instid1(SALU_CYCLE_1)
	v_cmp_le_i32_e32 vcc_lo, s2, v0
	s_or_b32 s9, vcc_lo, s9
	s_and_not1_b32 exec_lo, exec_lo, s9
	s_cbranch_execnz .LBB4_2
.LBB4_3:
	s_endpgm
	.section	.rodata,"a",@progbits
	.p2align	6, 0x0
	.amdhsa_kernel _Z14moe_sum_kernelIfLi3EEvPT_PKS0_i
		.amdhsa_group_segment_fixed_size 0
		.amdhsa_private_segment_fixed_size 0
		.amdhsa_kernarg_size 280
		.amdhsa_user_sgpr_count 2
		.amdhsa_user_sgpr_dispatch_ptr 0
		.amdhsa_user_sgpr_queue_ptr 0
		.amdhsa_user_sgpr_kernarg_segment_ptr 1
		.amdhsa_user_sgpr_dispatch_id 0
		.amdhsa_user_sgpr_kernarg_preload_length 0
		.amdhsa_user_sgpr_kernarg_preload_offset 0
		.amdhsa_user_sgpr_private_segment_size 0
		.amdhsa_wavefront_size32 1
		.amdhsa_uses_dynamic_stack 0
		.amdhsa_enable_private_segment 0
		.amdhsa_system_sgpr_workgroup_id_x 1
		.amdhsa_system_sgpr_workgroup_id_y 0
		.amdhsa_system_sgpr_workgroup_id_z 0
		.amdhsa_system_sgpr_workgroup_info 0
		.amdhsa_system_vgpr_workitem_id 0
		.amdhsa_next_free_vgpr 8
		.amdhsa_next_free_sgpr 15
		.amdhsa_named_barrier_count 0
		.amdhsa_reserve_vcc 1
		.amdhsa_float_round_mode_32 0
		.amdhsa_float_round_mode_16_64 0
		.amdhsa_float_denorm_mode_32 3
		.amdhsa_float_denorm_mode_16_64 3
		.amdhsa_fp16_overflow 0
		.amdhsa_memory_ordered 1
		.amdhsa_forward_progress 1
		.amdhsa_inst_pref_size 3
		.amdhsa_round_robin_scheduling 0
		.amdhsa_exception_fp_ieee_invalid_op 0
		.amdhsa_exception_fp_denorm_src 0
		.amdhsa_exception_fp_ieee_div_zero 0
		.amdhsa_exception_fp_ieee_overflow 0
		.amdhsa_exception_fp_ieee_underflow 0
		.amdhsa_exception_fp_ieee_inexact 0
		.amdhsa_exception_int_div_zero 0
	.end_amdhsa_kernel
	.section	.text._Z14moe_sum_kernelIfLi3EEvPT_PKS0_i,"axG",@progbits,_Z14moe_sum_kernelIfLi3EEvPT_PKS0_i,comdat
.Lfunc_end4:
	.size	_Z14moe_sum_kernelIfLi3EEvPT_PKS0_i, .Lfunc_end4-_Z14moe_sum_kernelIfLi3EEvPT_PKS0_i
                                        ; -- End function
	.set _Z14moe_sum_kernelIfLi3EEvPT_PKS0_i.num_vgpr, 8
	.set _Z14moe_sum_kernelIfLi3EEvPT_PKS0_i.num_agpr, 0
	.set _Z14moe_sum_kernelIfLi3EEvPT_PKS0_i.numbered_sgpr, 15
	.set _Z14moe_sum_kernelIfLi3EEvPT_PKS0_i.num_named_barrier, 0
	.set _Z14moe_sum_kernelIfLi3EEvPT_PKS0_i.private_seg_size, 0
	.set _Z14moe_sum_kernelIfLi3EEvPT_PKS0_i.uses_vcc, 1
	.set _Z14moe_sum_kernelIfLi3EEvPT_PKS0_i.uses_flat_scratch, 0
	.set _Z14moe_sum_kernelIfLi3EEvPT_PKS0_i.has_dyn_sized_stack, 0
	.set _Z14moe_sum_kernelIfLi3EEvPT_PKS0_i.has_recursion, 0
	.set _Z14moe_sum_kernelIfLi3EEvPT_PKS0_i.has_indirect_call, 0
	.section	.AMDGPU.csdata,"",@progbits
; Kernel info:
; codeLenInByte = 284
; TotalNumSgprs: 17
; NumVgprs: 8
; ScratchSize: 0
; MemoryBound: 0
; FloatMode: 240
; IeeeMode: 1
; LDSByteSize: 0 bytes/workgroup (compile time only)
; SGPRBlocks: 0
; VGPRBlocks: 0
; NumSGPRsForWavesPerEU: 17
; NumVGPRsForWavesPerEU: 8
; NamedBarCnt: 0
; Occupancy: 16
; WaveLimiterHint : 0
; COMPUTE_PGM_RSRC2:SCRATCH_EN: 0
; COMPUTE_PGM_RSRC2:USER_SGPR: 2
; COMPUTE_PGM_RSRC2:TRAP_HANDLER: 0
; COMPUTE_PGM_RSRC2:TGID_X_EN: 1
; COMPUTE_PGM_RSRC2:TGID_Y_EN: 0
; COMPUTE_PGM_RSRC2:TGID_Z_EN: 0
; COMPUTE_PGM_RSRC2:TIDIG_COMP_CNT: 0
	.section	.text._Z14moe_sum_kernelIfLi4EEvPT_PKS0_i,"axG",@progbits,_Z14moe_sum_kernelIfLi4EEvPT_PKS0_i,comdat
	.protected	_Z14moe_sum_kernelIfLi4EEvPT_PKS0_i ; -- Begin function _Z14moe_sum_kernelIfLi4EEvPT_PKS0_i
	.globl	_Z14moe_sum_kernelIfLi4EEvPT_PKS0_i
	.p2align	8
	.type	_Z14moe_sum_kernelIfLi4EEvPT_PKS0_i,@function
_Z14moe_sum_kernelIfLi4EEvPT_PKS0_i:    ; @_Z14moe_sum_kernelIfLi4EEvPT_PKS0_i
; %bb.0:
	s_load_b32 s2, s[0:1], 0x10
	s_mov_b32 s3, exec_lo
	s_wait_kmcnt 0x0
	v_cmpx_gt_i32_e64 s2, v0
	s_cbranch_execz .LBB5_3
; %bb.1:
	s_clause 0x1
	s_load_b128 s[8:11], s[0:1], 0x0
	s_load_b32 s16, s[0:1], 0x24
	s_wait_xcnt 0x0
	s_bfe_u32 s0, ttmp6, 0x4000c
	s_and_b32 s1, ttmp6, 15
	s_add_co_i32 s0, s0, 1
	s_getreg_b32 s4, hwreg(HW_REG_IB_STS2, 6, 4)
	s_mul_i32 s5, ttmp9, s0
	s_mov_b32 s3, 0
	s_add_co_i32 s1, s1, s5
	s_cmp_eq_u32 s4, 0
	s_mov_b32 s7, s3
	s_cselect_b32 s6, ttmp9, s1
	s_mul_i32 s0, s2, 3
	s_mul_u64 s[6:7], s[2:3], s[6:7]
	s_mov_b32 s5, s3
	s_lshl_b64 s[12:13], s[6:7], 4
	s_lshl_b64 s[14:15], s[6:7], 2
	s_lshl_b32 s4, s2, 1
	s_mov_b32 s1, s3
	s_wait_kmcnt 0x0
	s_add_nc_u64 s[6:7], s[10:11], s[12:13]
	s_add_nc_u64 s[8:9], s[8:9], s[14:15]
	s_and_b32 s10, s16, 0xffff
	s_mov_b32 s11, s3
.LBB5_2:                                ; =>This Inner Loop Header: Depth=1
	v_ashrrev_i32_e32 v1, 31, v0
	s_delay_alu instid0(VALU_DEP_1)
	v_lshl_add_u64 v[2:3], v[0:1], 2, s[6:7]
	global_load_b32 v1, v0, s[6:7] scale_offset
	v_lshl_add_u64 v[4:5], s[2:3], 2, v[2:3]
	v_lshl_add_u64 v[6:7], s[4:5], 2, v[2:3]
	;; [unrolled: 1-line block ×3, first 2 shown]
	s_clause 0x2
	global_load_b32 v4, v[4:5], off
	global_load_b32 v5, v[6:7], off
	global_load_b32 v8, v[2:3], off
	s_wait_loadcnt 0x3
	v_add_f32_e32 v1, 0, v1
	s_wait_loadcnt 0x2
	s_delay_alu instid0(VALU_DEP_1) | instskip(SKIP_1) | instid1(VALU_DEP_1)
	v_add_f32_e32 v1, v1, v4
	s_wait_loadcnt 0x1
	v_add_f32_e32 v1, v1, v5
	s_wait_loadcnt 0x0
	s_delay_alu instid0(VALU_DEP_1) | instskip(SKIP_3) | instid1(VALU_DEP_1)
	v_add_f32_e32 v1, v1, v8
	global_store_b32 v0, v1, s[8:9] scale_offset
	s_wait_xcnt 0x0
	v_add_nc_u32_e32 v0, s10, v0
	v_cmp_le_i32_e32 vcc_lo, s2, v0
	s_or_b32 s11, vcc_lo, s11
	s_delay_alu instid0(SALU_CYCLE_1)
	s_and_not1_b32 exec_lo, exec_lo, s11
	s_cbranch_execnz .LBB5_2
.LBB5_3:
	s_endpgm
	.section	.rodata,"a",@progbits
	.p2align	6, 0x0
	.amdhsa_kernel _Z14moe_sum_kernelIfLi4EEvPT_PKS0_i
		.amdhsa_group_segment_fixed_size 0
		.amdhsa_private_segment_fixed_size 0
		.amdhsa_kernarg_size 280
		.amdhsa_user_sgpr_count 2
		.amdhsa_user_sgpr_dispatch_ptr 0
		.amdhsa_user_sgpr_queue_ptr 0
		.amdhsa_user_sgpr_kernarg_segment_ptr 1
		.amdhsa_user_sgpr_dispatch_id 0
		.amdhsa_user_sgpr_kernarg_preload_length 0
		.amdhsa_user_sgpr_kernarg_preload_offset 0
		.amdhsa_user_sgpr_private_segment_size 0
		.amdhsa_wavefront_size32 1
		.amdhsa_uses_dynamic_stack 0
		.amdhsa_enable_private_segment 0
		.amdhsa_system_sgpr_workgroup_id_x 1
		.amdhsa_system_sgpr_workgroup_id_y 0
		.amdhsa_system_sgpr_workgroup_id_z 0
		.amdhsa_system_sgpr_workgroup_info 0
		.amdhsa_system_vgpr_workitem_id 0
		.amdhsa_next_free_vgpr 9
		.amdhsa_next_free_sgpr 17
		.amdhsa_named_barrier_count 0
		.amdhsa_reserve_vcc 1
		.amdhsa_float_round_mode_32 0
		.amdhsa_float_round_mode_16_64 0
		.amdhsa_float_denorm_mode_32 3
		.amdhsa_float_denorm_mode_16_64 3
		.amdhsa_fp16_overflow 0
		.amdhsa_memory_ordered 1
		.amdhsa_forward_progress 1
		.amdhsa_inst_pref_size 3
		.amdhsa_round_robin_scheduling 0
		.amdhsa_exception_fp_ieee_invalid_op 0
		.amdhsa_exception_fp_denorm_src 0
		.amdhsa_exception_fp_ieee_div_zero 0
		.amdhsa_exception_fp_ieee_overflow 0
		.amdhsa_exception_fp_ieee_underflow 0
		.amdhsa_exception_fp_ieee_inexact 0
		.amdhsa_exception_int_div_zero 0
	.end_amdhsa_kernel
	.section	.text._Z14moe_sum_kernelIfLi4EEvPT_PKS0_i,"axG",@progbits,_Z14moe_sum_kernelIfLi4EEvPT_PKS0_i,comdat
.Lfunc_end5:
	.size	_Z14moe_sum_kernelIfLi4EEvPT_PKS0_i, .Lfunc_end5-_Z14moe_sum_kernelIfLi4EEvPT_PKS0_i
                                        ; -- End function
	.set _Z14moe_sum_kernelIfLi4EEvPT_PKS0_i.num_vgpr, 9
	.set _Z14moe_sum_kernelIfLi4EEvPT_PKS0_i.num_agpr, 0
	.set _Z14moe_sum_kernelIfLi4EEvPT_PKS0_i.numbered_sgpr, 17
	.set _Z14moe_sum_kernelIfLi4EEvPT_PKS0_i.num_named_barrier, 0
	.set _Z14moe_sum_kernelIfLi4EEvPT_PKS0_i.private_seg_size, 0
	.set _Z14moe_sum_kernelIfLi4EEvPT_PKS0_i.uses_vcc, 1
	.set _Z14moe_sum_kernelIfLi4EEvPT_PKS0_i.uses_flat_scratch, 0
	.set _Z14moe_sum_kernelIfLi4EEvPT_PKS0_i.has_dyn_sized_stack, 0
	.set _Z14moe_sum_kernelIfLi4EEvPT_PKS0_i.has_recursion, 0
	.set _Z14moe_sum_kernelIfLi4EEvPT_PKS0_i.has_indirect_call, 0
	.section	.AMDGPU.csdata,"",@progbits
; Kernel info:
; codeLenInByte = 324
; TotalNumSgprs: 19
; NumVgprs: 9
; ScratchSize: 0
; MemoryBound: 0
; FloatMode: 240
; IeeeMode: 1
; LDSByteSize: 0 bytes/workgroup (compile time only)
; SGPRBlocks: 0
; VGPRBlocks: 0
; NumSGPRsForWavesPerEU: 19
; NumVGPRsForWavesPerEU: 9
; NamedBarCnt: 0
; Occupancy: 16
; WaveLimiterHint : 0
; COMPUTE_PGM_RSRC2:SCRATCH_EN: 0
; COMPUTE_PGM_RSRC2:USER_SGPR: 2
; COMPUTE_PGM_RSRC2:TRAP_HANDLER: 0
; COMPUTE_PGM_RSRC2:TGID_X_EN: 1
; COMPUTE_PGM_RSRC2:TGID_Y_EN: 0
; COMPUTE_PGM_RSRC2:TGID_Z_EN: 0
; COMPUTE_PGM_RSRC2:TIDIG_COMP_CNT: 0
	.section	.AMDGPU.gpr_maximums,"",@progbits
	.set amdgpu.max_num_vgpr, 0
	.set amdgpu.max_num_agpr, 0
	.set amdgpu.max_num_sgpr, 0
	.section	.AMDGPU.csdata,"",@progbits
	.type	__hip_cuid_e6f5ac37de279a66,@object ; @__hip_cuid_e6f5ac37de279a66
	.section	.bss,"aw",@nobits
	.globl	__hip_cuid_e6f5ac37de279a66
__hip_cuid_e6f5ac37de279a66:
	.byte	0                               ; 0x0
	.size	__hip_cuid_e6f5ac37de279a66, 1

	.ident	"AMD clang version 22.0.0git (https://github.com/RadeonOpenCompute/llvm-project roc-7.2.4 26084 f58b06dce1f9c15707c5f808fd002e18c2accf7e)"
	.section	".note.GNU-stack","",@progbits
	.addrsig
	.addrsig_sym __hip_cuid_e6f5ac37de279a66
	.amdgpu_metadata
---
amdhsa.kernels:
  - .args:
      - .actual_access:  write_only
        .address_space:  global
        .offset:         0
        .size:           8
        .value_kind:     global_buffer
      - .actual_access:  read_only
        .address_space:  global
        .offset:         8
        .size:           8
        .value_kind:     global_buffer
      - .offset:         16
        .size:           4
        .value_kind:     by_value
      - .offset:         24
        .size:           4
        .value_kind:     hidden_block_count_x
      - .offset:         28
        .size:           4
        .value_kind:     hidden_block_count_y
      - .offset:         32
        .size:           4
        .value_kind:     hidden_block_count_z
      - .offset:         36
        .size:           2
        .value_kind:     hidden_group_size_x
      - .offset:         38
        .size:           2
        .value_kind:     hidden_group_size_y
      - .offset:         40
        .size:           2
        .value_kind:     hidden_group_size_z
      - .offset:         42
        .size:           2
        .value_kind:     hidden_remainder_x
      - .offset:         44
        .size:           2
        .value_kind:     hidden_remainder_y
      - .offset:         46
        .size:           2
        .value_kind:     hidden_remainder_z
      - .offset:         64
        .size:           8
        .value_kind:     hidden_global_offset_x
      - .offset:         72
        .size:           8
        .value_kind:     hidden_global_offset_y
      - .offset:         80
        .size:           8
        .value_kind:     hidden_global_offset_z
      - .offset:         88
        .size:           2
        .value_kind:     hidden_grid_dims
    .group_segment_fixed_size: 0
    .kernarg_segment_align: 8
    .kernarg_segment_size: 280
    .language:       OpenCL C
    .language_version:
      - 2
      - 0
    .max_flat_workgroup_size: 1024
    .name:           _Z19moe_sum_kernel_vec4ILi2EEvPfPKfi
    .private_segment_fixed_size: 0
    .sgpr_count:     18
    .sgpr_spill_count: 0
    .symbol:         _Z19moe_sum_kernel_vec4ILi2EEvPfPKfi.kd
    .uniform_work_group_size: 1
    .uses_dynamic_stack: false
    .vgpr_count:     28
    .vgpr_spill_count: 0
    .wavefront_size: 32
  - .args:
      - .actual_access:  write_only
        .address_space:  global
        .offset:         0
        .size:           8
        .value_kind:     global_buffer
      - .actual_access:  read_only
        .address_space:  global
        .offset:         8
        .size:           8
        .value_kind:     global_buffer
      - .offset:         16
        .size:           4
        .value_kind:     by_value
      - .offset:         24
        .size:           4
        .value_kind:     hidden_block_count_x
      - .offset:         28
        .size:           4
        .value_kind:     hidden_block_count_y
      - .offset:         32
        .size:           4
        .value_kind:     hidden_block_count_z
      - .offset:         36
        .size:           2
        .value_kind:     hidden_group_size_x
      - .offset:         38
        .size:           2
        .value_kind:     hidden_group_size_y
      - .offset:         40
        .size:           2
        .value_kind:     hidden_group_size_z
      - .offset:         42
        .size:           2
        .value_kind:     hidden_remainder_x
      - .offset:         44
        .size:           2
        .value_kind:     hidden_remainder_y
      - .offset:         46
        .size:           2
        .value_kind:     hidden_remainder_z
      - .offset:         64
        .size:           8
        .value_kind:     hidden_global_offset_x
      - .offset:         72
        .size:           8
        .value_kind:     hidden_global_offset_y
      - .offset:         80
        .size:           8
        .value_kind:     hidden_global_offset_z
      - .offset:         88
        .size:           2
        .value_kind:     hidden_grid_dims
    .group_segment_fixed_size: 0
    .kernarg_segment_align: 8
    .kernarg_segment_size: 280
    .language:       OpenCL C
    .language_version:
      - 2
      - 0
    .max_flat_workgroup_size: 1024
    .name:           _Z19moe_sum_kernel_vec4ILi3EEvPfPKfi
    .private_segment_fixed_size: 0
    .sgpr_count:     19
    .sgpr_spill_count: 0
    .symbol:         _Z19moe_sum_kernel_vec4ILi3EEvPfPKfi.kd
    .uniform_work_group_size: 1
    .uses_dynamic_stack: false
    .vgpr_count:     36
    .vgpr_spill_count: 0
    .wavefront_size: 32
  - .args:
      - .actual_access:  write_only
        .address_space:  global
        .offset:         0
        .size:           8
        .value_kind:     global_buffer
      - .actual_access:  read_only
        .address_space:  global
        .offset:         8
        .size:           8
        .value_kind:     global_buffer
      - .offset:         16
        .size:           4
        .value_kind:     by_value
      - .offset:         24
        .size:           4
        .value_kind:     hidden_block_count_x
      - .offset:         28
        .size:           4
        .value_kind:     hidden_block_count_y
      - .offset:         32
        .size:           4
        .value_kind:     hidden_block_count_z
      - .offset:         36
        .size:           2
        .value_kind:     hidden_group_size_x
      - .offset:         38
        .size:           2
        .value_kind:     hidden_group_size_y
      - .offset:         40
        .size:           2
        .value_kind:     hidden_group_size_z
      - .offset:         42
        .size:           2
        .value_kind:     hidden_remainder_x
      - .offset:         44
        .size:           2
        .value_kind:     hidden_remainder_y
      - .offset:         46
        .size:           2
        .value_kind:     hidden_remainder_z
      - .offset:         64
        .size:           8
        .value_kind:     hidden_global_offset_x
      - .offset:         72
        .size:           8
        .value_kind:     hidden_global_offset_y
      - .offset:         80
        .size:           8
        .value_kind:     hidden_global_offset_z
      - .offset:         88
        .size:           2
        .value_kind:     hidden_grid_dims
    .group_segment_fixed_size: 0
    .kernarg_segment_align: 8
    .kernarg_segment_size: 280
    .language:       OpenCL C
    .language_version:
      - 2
      - 0
    .max_flat_workgroup_size: 1024
    .name:           _Z19moe_sum_kernel_vec4ILi4EEvPfPKfi
    .private_segment_fixed_size: 0
    .sgpr_count:     21
    .sgpr_spill_count: 0
    .symbol:         _Z19moe_sum_kernel_vec4ILi4EEvPfPKfi.kd
    .uniform_work_group_size: 1
    .uses_dynamic_stack: false
    .vgpr_count:     44
    .vgpr_spill_count: 0
    .wavefront_size: 32
  - .args:
      - .actual_access:  write_only
        .address_space:  global
        .offset:         0
        .size:           8
        .value_kind:     global_buffer
      - .actual_access:  read_only
        .address_space:  global
        .offset:         8
        .size:           8
        .value_kind:     global_buffer
      - .offset:         16
        .size:           4
        .value_kind:     by_value
      - .offset:         24
        .size:           4
        .value_kind:     hidden_block_count_x
      - .offset:         28
        .size:           4
        .value_kind:     hidden_block_count_y
      - .offset:         32
        .size:           4
        .value_kind:     hidden_block_count_z
      - .offset:         36
        .size:           2
        .value_kind:     hidden_group_size_x
      - .offset:         38
        .size:           2
        .value_kind:     hidden_group_size_y
      - .offset:         40
        .size:           2
        .value_kind:     hidden_group_size_z
      - .offset:         42
        .size:           2
        .value_kind:     hidden_remainder_x
      - .offset:         44
        .size:           2
        .value_kind:     hidden_remainder_y
      - .offset:         46
        .size:           2
        .value_kind:     hidden_remainder_z
      - .offset:         64
        .size:           8
        .value_kind:     hidden_global_offset_x
      - .offset:         72
        .size:           8
        .value_kind:     hidden_global_offset_y
      - .offset:         80
        .size:           8
        .value_kind:     hidden_global_offset_z
      - .offset:         88
        .size:           2
        .value_kind:     hidden_grid_dims
    .group_segment_fixed_size: 0
    .kernarg_segment_align: 8
    .kernarg_segment_size: 280
    .language:       OpenCL C
    .language_version:
      - 2
      - 0
    .max_flat_workgroup_size: 1024
    .name:           _Z14moe_sum_kernelIfLi2EEvPT_PKS0_i
    .private_segment_fixed_size: 0
    .sgpr_count:     15
    .sgpr_spill_count: 0
    .symbol:         _Z14moe_sum_kernelIfLi2EEvPT_PKS0_i.kd
    .uniform_work_group_size: 1
    .uses_dynamic_stack: false
    .vgpr_count:     5
    .vgpr_spill_count: 0
    .wavefront_size: 32
  - .args:
      - .actual_access:  write_only
        .address_space:  global
        .offset:         0
        .size:           8
        .value_kind:     global_buffer
      - .actual_access:  read_only
        .address_space:  global
        .offset:         8
        .size:           8
        .value_kind:     global_buffer
      - .offset:         16
        .size:           4
        .value_kind:     by_value
      - .offset:         24
        .size:           4
        .value_kind:     hidden_block_count_x
      - .offset:         28
        .size:           4
        .value_kind:     hidden_block_count_y
      - .offset:         32
        .size:           4
        .value_kind:     hidden_block_count_z
      - .offset:         36
        .size:           2
        .value_kind:     hidden_group_size_x
      - .offset:         38
        .size:           2
        .value_kind:     hidden_group_size_y
      - .offset:         40
        .size:           2
        .value_kind:     hidden_group_size_z
      - .offset:         42
        .size:           2
        .value_kind:     hidden_remainder_x
      - .offset:         44
        .size:           2
        .value_kind:     hidden_remainder_y
      - .offset:         46
        .size:           2
        .value_kind:     hidden_remainder_z
      - .offset:         64
        .size:           8
        .value_kind:     hidden_global_offset_x
      - .offset:         72
        .size:           8
        .value_kind:     hidden_global_offset_y
      - .offset:         80
        .size:           8
        .value_kind:     hidden_global_offset_z
      - .offset:         88
        .size:           2
        .value_kind:     hidden_grid_dims
    .group_segment_fixed_size: 0
    .kernarg_segment_align: 8
    .kernarg_segment_size: 280
    .language:       OpenCL C
    .language_version:
      - 2
      - 0
    .max_flat_workgroup_size: 1024
    .name:           _Z14moe_sum_kernelIfLi3EEvPT_PKS0_i
    .private_segment_fixed_size: 0
    .sgpr_count:     17
    .sgpr_spill_count: 0
    .symbol:         _Z14moe_sum_kernelIfLi3EEvPT_PKS0_i.kd
    .uniform_work_group_size: 1
    .uses_dynamic_stack: false
    .vgpr_count:     8
    .vgpr_spill_count: 0
    .wavefront_size: 32
  - .args:
      - .actual_access:  write_only
        .address_space:  global
        .offset:         0
        .size:           8
        .value_kind:     global_buffer
      - .actual_access:  read_only
        .address_space:  global
        .offset:         8
        .size:           8
        .value_kind:     global_buffer
      - .offset:         16
        .size:           4
        .value_kind:     by_value
      - .offset:         24
        .size:           4
        .value_kind:     hidden_block_count_x
      - .offset:         28
        .size:           4
        .value_kind:     hidden_block_count_y
      - .offset:         32
        .size:           4
        .value_kind:     hidden_block_count_z
      - .offset:         36
        .size:           2
        .value_kind:     hidden_group_size_x
      - .offset:         38
        .size:           2
        .value_kind:     hidden_group_size_y
      - .offset:         40
        .size:           2
        .value_kind:     hidden_group_size_z
      - .offset:         42
        .size:           2
        .value_kind:     hidden_remainder_x
      - .offset:         44
        .size:           2
        .value_kind:     hidden_remainder_y
      - .offset:         46
        .size:           2
        .value_kind:     hidden_remainder_z
      - .offset:         64
        .size:           8
        .value_kind:     hidden_global_offset_x
      - .offset:         72
        .size:           8
        .value_kind:     hidden_global_offset_y
      - .offset:         80
        .size:           8
        .value_kind:     hidden_global_offset_z
      - .offset:         88
        .size:           2
        .value_kind:     hidden_grid_dims
    .group_segment_fixed_size: 0
    .kernarg_segment_align: 8
    .kernarg_segment_size: 280
    .language:       OpenCL C
    .language_version:
      - 2
      - 0
    .max_flat_workgroup_size: 1024
    .name:           _Z14moe_sum_kernelIfLi4EEvPT_PKS0_i
    .private_segment_fixed_size: 0
    .sgpr_count:     19
    .sgpr_spill_count: 0
    .symbol:         _Z14moe_sum_kernelIfLi4EEvPT_PKS0_i.kd
    .uniform_work_group_size: 1
    .uses_dynamic_stack: false
    .vgpr_count:     9
    .vgpr_spill_count: 0
    .wavefront_size: 32
amdhsa.target:   amdgcn-amd-amdhsa--gfx1250
amdhsa.version:
  - 1
  - 2
...

	.end_amdgpu_metadata
